;; amdgpu-corpus repo=ROCm/rocFFT kind=compiled arch=gfx950 opt=O3
	.text
	.amdgcn_target "amdgcn-amd-amdhsa--gfx950"
	.amdhsa_code_object_version 6
	.protected	fft_rtc_back_len1225_factors_5_5_7_7_wgs_175_tpt_175_halfLds_sp_op_CI_CI_sbrr_dirReg ; -- Begin function fft_rtc_back_len1225_factors_5_5_7_7_wgs_175_tpt_175_halfLds_sp_op_CI_CI_sbrr_dirReg
	.globl	fft_rtc_back_len1225_factors_5_5_7_7_wgs_175_tpt_175_halfLds_sp_op_CI_CI_sbrr_dirReg
	.p2align	8
	.type	fft_rtc_back_len1225_factors_5_5_7_7_wgs_175_tpt_175_halfLds_sp_op_CI_CI_sbrr_dirReg,@function
fft_rtc_back_len1225_factors_5_5_7_7_wgs_175_tpt_175_halfLds_sp_op_CI_CI_sbrr_dirReg: ; @fft_rtc_back_len1225_factors_5_5_7_7_wgs_175_tpt_175_halfLds_sp_op_CI_CI_sbrr_dirReg
; %bb.0:
	s_load_dwordx4 s[12:15], s[0:1], 0x18
	s_load_dwordx4 s[8:11], s[0:1], 0x0
	;; [unrolled: 1-line block ×3, first 2 shown]
	v_mul_u32_u24_e32 v1, 0x177, v0
	v_add_u32_sdwa v10, s2, v1 dst_sel:DWORD dst_unused:UNUSED_PAD src0_sel:DWORD src1_sel:WORD_1
	s_waitcnt lgkmcnt(0)
	s_load_dwordx2 s[18:19], s[12:13], 0x0
	s_load_dwordx2 s[16:17], s[14:15], 0x0
	v_mov_b32_e32 v8, 0
	v_cmp_lt_u64_e64 s[2:3], s[10:11], 2
	v_mov_b32_e32 v11, v8
	s_and_b64 vcc, exec, s[2:3]
	v_mov_b64_e32 v[6:7], 0
	s_cbranch_vccnz .LBB0_8
; %bb.1:
	s_load_dwordx2 s[2:3], s[0:1], 0x10
	s_add_u32 s20, s14, 8
	s_addc_u32 s21, s15, 0
	s_add_u32 s22, s12, 8
	s_addc_u32 s23, s13, 0
	s_waitcnt lgkmcnt(0)
	s_add_u32 s24, s2, 8
	v_mov_b64_e32 v[6:7], 0
	s_addc_u32 s25, s3, 0
	s_mov_b64 s[26:27], 1
	v_mov_b64_e32 v[2:3], v[6:7]
.LBB0_2:                                ; =>This Inner Loop Header: Depth=1
	s_load_dwordx2 s[28:29], s[24:25], 0x0
                                        ; implicit-def: $vgpr4_vgpr5
	s_waitcnt lgkmcnt(0)
	v_or_b32_e32 v9, s29, v11
	v_cmp_ne_u64_e32 vcc, 0, v[8:9]
	s_and_saveexec_b64 s[2:3], vcc
	s_xor_b64 s[30:31], exec, s[2:3]
	s_cbranch_execz .LBB0_4
; %bb.3:                                ;   in Loop: Header=BB0_2 Depth=1
	v_cvt_f32_u32_e32 v1, s28
	v_cvt_f32_u32_e32 v4, s29
	s_sub_u32 s2, 0, s28
	s_subb_u32 s3, 0, s29
	v_fmac_f32_e32 v1, 0x4f800000, v4
	v_rcp_f32_e32 v1, v1
	s_nop 0
	v_mul_f32_e32 v1, 0x5f7ffffc, v1
	v_mul_f32_e32 v4, 0x2f800000, v1
	v_trunc_f32_e32 v4, v4
	v_fmac_f32_e32 v1, 0xcf800000, v4
	v_cvt_u32_f32_e32 v9, v4
	v_cvt_u32_f32_e32 v1, v1
	v_mul_lo_u32 v4, s2, v9
	v_mul_hi_u32 v12, s2, v1
	v_mul_lo_u32 v5, s3, v1
	v_add_u32_e32 v12, v12, v4
	v_mul_lo_u32 v14, s2, v1
	v_add_u32_e32 v15, v12, v5
	v_mul_hi_u32 v4, v1, v14
	v_mul_hi_u32 v13, v1, v15
	v_mul_lo_u32 v12, v1, v15
	v_mov_b32_e32 v5, v8
	v_lshl_add_u64 v[4:5], v[4:5], 0, v[12:13]
	v_mul_hi_u32 v13, v9, v14
	v_mul_lo_u32 v14, v9, v14
	v_add_co_u32_e32 v4, vcc, v4, v14
	v_mul_hi_u32 v12, v9, v15
	s_nop 0
	v_addc_co_u32_e32 v4, vcc, v5, v13, vcc
	v_mov_b32_e32 v5, v8
	s_nop 0
	v_addc_co_u32_e32 v13, vcc, 0, v12, vcc
	v_mul_lo_u32 v12, v9, v15
	v_lshl_add_u64 v[4:5], v[4:5], 0, v[12:13]
	v_add_co_u32_e32 v1, vcc, v1, v4
	v_mul_lo_u32 v12, s2, v1
	s_nop 0
	v_addc_co_u32_e32 v9, vcc, v9, v5, vcc
	v_mul_lo_u32 v4, s2, v9
	v_mul_hi_u32 v5, s2, v1
	v_add_u32_e32 v4, v5, v4
	v_mul_lo_u32 v5, s3, v1
	v_add_u32_e32 v14, v4, v5
	v_mul_hi_u32 v16, v9, v12
	v_mul_lo_u32 v17, v9, v12
	v_mul_hi_u32 v5, v1, v14
	v_mul_lo_u32 v4, v1, v14
	v_mul_hi_u32 v12, v1, v12
	v_mov_b32_e32 v13, v8
	v_lshl_add_u64 v[4:5], v[12:13], 0, v[4:5]
	v_add_co_u32_e32 v4, vcc, v4, v17
	v_mul_hi_u32 v15, v9, v14
	s_nop 0
	v_addc_co_u32_e32 v4, vcc, v5, v16, vcc
	v_mul_lo_u32 v12, v9, v14
	s_nop 0
	v_addc_co_u32_e32 v13, vcc, 0, v15, vcc
	v_mov_b32_e32 v5, v8
	v_lshl_add_u64 v[4:5], v[4:5], 0, v[12:13]
	v_add_co_u32_e32 v1, vcc, v1, v4
	v_mul_hi_u32 v12, v10, v1
	s_nop 0
	v_addc_co_u32_e32 v9, vcc, v9, v5, vcc
	v_mad_u64_u32 v[4:5], s[2:3], v10, v9, 0
	v_mov_b32_e32 v13, v8
	v_lshl_add_u64 v[4:5], v[12:13], 0, v[4:5]
	v_mad_u64_u32 v[14:15], s[2:3], v11, v1, 0
	v_add_co_u32_e32 v1, vcc, v4, v14
	v_mad_u64_u32 v[12:13], s[2:3], v11, v9, 0
	s_nop 0
	v_addc_co_u32_e32 v4, vcc, v5, v15, vcc
	v_mov_b32_e32 v5, v8
	s_nop 0
	v_addc_co_u32_e32 v13, vcc, 0, v13, vcc
	v_lshl_add_u64 v[4:5], v[4:5], 0, v[12:13]
	v_mul_lo_u32 v1, s29, v4
	v_mul_lo_u32 v9, s28, v5
	v_mad_u64_u32 v[12:13], s[2:3], s28, v4, 0
	v_add3_u32 v1, v13, v9, v1
	v_sub_u32_e32 v9, v11, v1
	v_mov_b32_e32 v13, s29
	v_sub_co_u32_e32 v16, vcc, v10, v12
	v_lshl_add_u64 v[14:15], v[4:5], 0, 1
	s_nop 0
	v_subb_co_u32_e64 v9, s[2:3], v9, v13, vcc
	v_subrev_co_u32_e64 v12, s[2:3], s28, v16
	v_subb_co_u32_e32 v1, vcc, v11, v1, vcc
	s_nop 0
	v_subbrev_co_u32_e64 v9, s[2:3], 0, v9, s[2:3]
	v_cmp_le_u32_e64 s[2:3], s29, v9
	v_cmp_le_u32_e32 vcc, s29, v1
	s_nop 0
	v_cndmask_b32_e64 v13, 0, -1, s[2:3]
	v_cmp_le_u32_e64 s[2:3], s28, v12
	s_nop 1
	v_cndmask_b32_e64 v12, 0, -1, s[2:3]
	v_cmp_eq_u32_e64 s[2:3], s29, v9
	s_nop 1
	v_cndmask_b32_e64 v9, v13, v12, s[2:3]
	v_lshl_add_u64 v[12:13], v[4:5], 0, 2
	v_cmp_ne_u32_e64 s[2:3], 0, v9
	s_nop 1
	v_cndmask_b32_e64 v9, v15, v13, s[2:3]
	v_cndmask_b32_e64 v13, 0, -1, vcc
	v_cmp_le_u32_e32 vcc, s28, v16
	s_nop 1
	v_cndmask_b32_e64 v15, 0, -1, vcc
	v_cmp_eq_u32_e32 vcc, s29, v1
	s_nop 1
	v_cndmask_b32_e32 v1, v13, v15, vcc
	v_cmp_ne_u32_e32 vcc, 0, v1
	v_cndmask_b32_e64 v1, v14, v12, s[2:3]
	s_nop 0
	v_cndmask_b32_e32 v5, v5, v9, vcc
	v_cndmask_b32_e32 v4, v4, v1, vcc
.LBB0_4:                                ;   in Loop: Header=BB0_2 Depth=1
	s_andn2_saveexec_b64 s[2:3], s[30:31]
	s_cbranch_execz .LBB0_6
; %bb.5:                                ;   in Loop: Header=BB0_2 Depth=1
	v_cvt_f32_u32_e32 v1, s28
	s_sub_i32 s30, 0, s28
	v_rcp_iflag_f32_e32 v1, v1
	s_nop 0
	v_mul_f32_e32 v1, 0x4f7ffffe, v1
	v_cvt_u32_f32_e32 v1, v1
	v_mul_lo_u32 v4, s30, v1
	v_mul_hi_u32 v4, v1, v4
	v_add_u32_e32 v1, v1, v4
	v_mul_hi_u32 v1, v10, v1
	v_mul_lo_u32 v4, v1, s28
	v_sub_u32_e32 v4, v10, v4
	v_add_u32_e32 v5, 1, v1
	v_subrev_u32_e32 v9, s28, v4
	v_cmp_le_u32_e32 vcc, s28, v4
	s_nop 1
	v_cndmask_b32_e32 v4, v4, v9, vcc
	v_cndmask_b32_e32 v1, v1, v5, vcc
	v_add_u32_e32 v5, 1, v1
	v_cmp_le_u32_e32 vcc, s28, v4
	s_nop 1
	v_cndmask_b32_e32 v4, v1, v5, vcc
	v_mov_b32_e32 v5, v8
.LBB0_6:                                ;   in Loop: Header=BB0_2 Depth=1
	s_or_b64 exec, exec, s[2:3]
	v_mad_u64_u32 v[12:13], s[2:3], v4, s28, 0
	s_load_dwordx2 s[2:3], s[22:23], 0x0
	v_mul_lo_u32 v1, v5, s28
	v_mul_lo_u32 v9, v4, s29
	s_load_dwordx2 s[28:29], s[20:21], 0x0
	s_add_u32 s26, s26, 1
	v_add3_u32 v1, v13, v9, v1
	v_sub_co_u32_e32 v9, vcc, v10, v12
	s_addc_u32 s27, s27, 0
	s_nop 0
	v_subb_co_u32_e32 v1, vcc, v11, v1, vcc
	s_add_u32 s20, s20, 8
	s_waitcnt lgkmcnt(0)
	v_mul_lo_u32 v10, s2, v1
	v_mul_lo_u32 v11, s3, v9
	v_mad_u64_u32 v[6:7], s[2:3], s2, v9, v[6:7]
	s_addc_u32 s21, s21, 0
	v_add3_u32 v7, v11, v7, v10
	v_mul_lo_u32 v1, s28, v1
	v_mul_lo_u32 v10, s29, v9
	v_mad_u64_u32 v[2:3], s[2:3], s28, v9, v[2:3]
	s_add_u32 s22, s22, 8
	v_add3_u32 v3, v10, v3, v1
	s_addc_u32 s23, s23, 0
	v_mov_b64_e32 v[10:11], s[10:11]
	s_add_u32 s24, s24, 8
	v_cmp_ge_u64_e32 vcc, s[26:27], v[10:11]
	s_addc_u32 s25, s25, 0
	s_cbranch_vccnz .LBB0_9
; %bb.7:                                ;   in Loop: Header=BB0_2 Depth=1
	v_mov_b64_e32 v[10:11], v[4:5]
	s_branch .LBB0_2
.LBB0_8:
	v_mov_b64_e32 v[2:3], v[6:7]
	v_mov_b64_e32 v[4:5], v[10:11]
.LBB0_9:
	s_load_dwordx2 s[0:1], s[0:1], 0x28
	s_lshl_b64 s[20:21], s[10:11], 3
	s_add_u32 s10, s14, s20
	s_addc_u32 s11, s15, s21
                                        ; implicit-def: $sgpr14
                                        ; implicit-def: $vgpr36
	s_waitcnt lgkmcnt(0)
	v_cmp_gt_u64_e32 vcc, s[0:1], v[4:5]
	v_cmp_le_u64_e64 s[0:1], s[0:1], v[4:5]
	s_and_saveexec_b64 s[2:3], s[0:1]
	s_xor_b64 s[0:1], exec, s[2:3]
; %bb.10:
	s_mov_b32 s2, 0x1767dcf
	v_mul_hi_u32 v1, v0, s2
	v_mul_u32_u24_e32 v1, 0xaf, v1
	v_sub_u32_e32 v36, v0, v1
	s_mov_b32 s14, 0
                                        ; implicit-def: $vgpr0
                                        ; implicit-def: $vgpr6_vgpr7
; %bb.11:
	s_or_saveexec_b64 s[2:3], s[0:1]
	s_load_dwordx2 s[10:11], s[10:11], 0x0
	v_mov_b32_e32 v38, s14
                                        ; implicit-def: $vgpr14
                                        ; implicit-def: $vgpr18
                                        ; implicit-def: $vgpr30
                                        ; implicit-def: $vgpr28
                                        ; implicit-def: $vgpr32
                                        ; implicit-def: $vgpr8
                                        ; implicit-def: $vgpr20
                                        ; implicit-def: $vgpr35
                                        ; implicit-def: $vgpr24
                                        ; implicit-def: $vgpr22
                                        ; implicit-def: $vgpr37
                                        ; implicit-def: $vgpr16
	s_xor_b64 exec, exec, s[2:3]
	s_cbranch_execz .LBB0_15
; %bb.12:
	s_add_u32 s0, s12, s20
	s_addc_u32 s1, s13, s21
	s_load_dwordx2 s[0:1], s[0:1], 0x0
	s_mov_b32 s12, 0x1767dcf
                                        ; implicit-def: $vgpr25
                                        ; implicit-def: $vgpr29
                                        ; implicit-def: $vgpr31
                                        ; implicit-def: $vgpr19
	s_waitcnt lgkmcnt(0)
	v_mul_lo_u32 v1, s1, v4
	v_mul_lo_u32 v10, s0, v5
	v_mad_u64_u32 v[8:9], s[0:1], s0, v4, 0
	v_add3_u32 v9, v9, v10, v1
	v_mul_hi_u32 v1, v0, s12
	v_mul_u32_u24_e32 v1, 0xaf, v1
	v_sub_u32_e32 v36, v0, v1
	v_mad_u64_u32 v[0:1], s[0:1], s18, v36, 0
	v_mov_b32_e32 v10, v1
	v_mad_u64_u32 v[10:11], s[0:1], s19, v36, v[10:11]
	v_lshl_add_u64 v[8:9], v[8:9], 3, s[4:5]
	v_mov_b32_e32 v1, v10
	v_lshl_add_u64 v[6:7], v[6:7], 3, v[8:9]
	v_add_u32_e32 v9, 0xf5, v36
	v_lshl_add_u64 v[10:11], v[0:1], 3, v[6:7]
	v_mad_u64_u32 v[0:1], s[0:1], s18, v9, 0
	v_mov_b32_e32 v8, v1
	v_mad_u64_u32 v[8:9], s[0:1], s19, v9, v[8:9]
	v_mov_b32_e32 v1, v8
	v_add_u32_e32 v9, 0x1ea, v36
	v_lshl_add_u64 v[12:13], v[0:1], 3, v[6:7]
	v_mad_u64_u32 v[0:1], s[0:1], s18, v9, 0
	v_mov_b32_e32 v8, v1
	v_mad_u64_u32 v[8:9], s[0:1], s19, v9, v[8:9]
	v_mov_b32_e32 v1, v8
	v_add_u32_e32 v9, 0x2df, v36
	v_lshl_add_u64 v[14:15], v[0:1], 3, v[6:7]
	v_mad_u64_u32 v[0:1], s[0:1], s18, v9, 0
	v_mov_b32_e32 v8, v1
	v_mad_u64_u32 v[8:9], s[0:1], s19, v9, v[8:9]
	v_mov_b32_e32 v1, v8
	v_lshl_add_u64 v[16:17], v[0:1], 3, v[6:7]
	global_load_dwordx2 v[8:9], v[10:11], off
	global_load_dwordx2 v[0:1], v[12:13], off
	;; [unrolled: 1-line block ×4, first 2 shown]
	v_add_u32_e32 v13, 0x3d4, v36
	v_mad_u64_u32 v[10:11], s[0:1], s18, v13, 0
	v_mov_b32_e32 v12, v11
	v_mad_u64_u32 v[12:13], s[0:1], s19, v13, v[12:13]
	v_mov_b32_e32 v11, v12
	v_lshl_add_u64 v[10:11], v[10:11], 3, v[6:7]
	global_load_dwordx2 v[16:17], v[10:11], off
	s_movk_i32 s0, 0x46
	v_cmp_gt_u32_e64 s[0:1], s0, v36
                                        ; implicit-def: $vgpr15
	s_and_saveexec_b64 s[4:5], s[0:1]
	s_cbranch_execz .LBB0_14
; %bb.13:
	v_add_u32_e32 v13, 0xaf, v36
	v_mad_u64_u32 v[10:11], s[0:1], s18, v13, 0
	v_mov_b32_e32 v12, v11
	v_add_u32_e32 v11, 0x1a4, v36
	v_mad_u64_u32 v[14:15], s[0:1], s18, v11, 0
	v_mov_b32_e32 v18, v15
	v_mad_u64_u32 v[18:19], s[0:1], s19, v11, v[18:19]
	v_mov_b32_e32 v15, v18
	v_add_u32_e32 v11, 0x299, v36
	v_lshl_add_u64 v[24:25], v[14:15], 3, v[6:7]
	v_mad_u64_u32 v[14:15], s[0:1], s18, v11, 0
	v_mov_b32_e32 v18, v15
	v_mad_u64_u32 v[18:19], s[0:1], s19, v11, v[18:19]
	v_mov_b32_e32 v15, v18
	v_add_u32_e32 v11, 0x38e, v36
	v_lshl_add_u64 v[26:27], v[14:15], 3, v[6:7]
	v_mad_u64_u32 v[14:15], s[0:1], s18, v11, 0
	v_mov_b32_e32 v18, v15
	v_mad_u64_u32 v[18:19], s[0:1], s19, v11, v[18:19]
	v_mov_b32_e32 v15, v18
	v_add_u32_e32 v11, 0x483, v36
	v_lshl_add_u64 v[28:29], v[14:15], 3, v[6:7]
	v_mad_u64_u32 v[14:15], s[0:1], s18, v11, 0
	v_mov_b32_e32 v18, v15
	v_mad_u64_u32 v[18:19], s[0:1], s19, v11, v[18:19]
	v_mov_b32_e32 v15, v18
	v_mad_u64_u32 v[12:13], s[0:1], s19, v13, v[12:13]
	v_lshl_add_u64 v[30:31], v[14:15], 3, v[6:7]
	v_mov_b32_e32 v11, v12
	global_load_dwordx2 v[14:15], v[30:31], off
	global_load_dwordx2 v[18:19], v[24:25], off
	;; [unrolled: 1-line block ×4, first 2 shown]
	v_lshl_add_u64 v[6:7], v[10:11], 3, v[6:7]
	global_load_dwordx2 v[24:25], v[6:7], off
	s_waitcnt vmcnt(4)
	v_mov_b32_e32 v29, v14
	s_waitcnt vmcnt(3)
	v_mov_b32_e32 v31, v18
	;; [unrolled: 2-line block ×4, first 2 shown]
	v_mov_b32_e32 v18, v33
	v_mov_b32_e32 v14, v35
.LBB0_14:
	s_or_b64 exec, exec, s[4:5]
	v_mov_b32_e32 v38, v36
	s_waitcnt vmcnt(3)
	v_mov_b32_e32 v32, v0
	v_mov_b32_e32 v33, v9
	;; [unrolled: 1-line block ×3, first 2 shown]
	s_waitcnt vmcnt(1)
	v_mov_b32_e32 v35, v21
	v_mov_b32_e32 v37, v23
.LBB0_15:
	s_or_b64 exec, exec, s[2:3]
	v_add_f32_e32 v0, v20, v22
	v_mov_b32_e32 v39, v8
	s_mov_b32 s0, 0x3f737871
	v_mov_b32_e32 v6, v31
	v_mov_b32_e32 v7, v30
	;; [unrolled: 1-line block ×4, first 2 shown]
	v_pk_add_f32 v[40:41], v[18:19], v[14:15] neg_lo:[0,1] neg_hi:[0,1]
	v_pk_add_f32 v[46:47], v[28:29], v[30:31]
	v_fmac_f32_e32 v39, -0.5, v0
	s_waitcnt vmcnt(0)
	v_add_f32_e32 v0, v32, v16
	v_pk_fma_f32 v[46:47], -0.5, v[46:47], v[24:25] op_sel_hi:[0,1,0]
	v_pk_mul_f32 v[48:49], v[40:41], s[0:1] op_sel_hi:[1,0]
	v_pk_add_f32 v[6:7], v[6:7], v[30:31] neg_lo:[0,1] neg_hi:[0,1]
	v_pk_add_f32 v[10:11], v[10:11], v[28:29] neg_lo:[0,1] neg_hi:[0,1]
	v_mul_f32_e32 v42, 0.5, v0
	v_pk_add_f32 v[6:7], v[10:11], v[6:7]
	v_pk_add_f32 v[10:11], v[46:47], v[48:49] op_sel:[0,1] op_sel_hi:[1,0]
	v_pk_add_f32 v[46:47], v[46:47], v[48:49] op_sel:[0,1] op_sel_hi:[1,0] neg_lo:[0,1] neg_hi:[0,1]
	v_mov_b32_e32 v43, v17
	s_mov_b32 s4, 0x3f167918
	v_mov_b32_e32 v48, v10
	v_mov_b32_e32 v49, v47
	;; [unrolled: 1-line block ×3, first 2 shown]
	v_pk_add_f32 v[42:43], v[8:9], v[42:43] neg_lo:[0,1] neg_hi:[0,1]
	v_sub_f32_e32 v27, v37, v35
	v_mov_b32_e32 v23, v20
	v_mov_b32_e32 v0, v32
	;; [unrolled: 1-line block ×3, first 2 shown]
	s_mov_b32 s2, 0x3e9e377a
	v_pk_fma_f32 v[48:49], v[40:41], s[4:5], v[48:49] op_sel_hi:[1,0,1]
	v_pk_fma_f32 v[10:11], v[40:41], s[4:5], v[46:47] op_sel_hi:[1,0,1] neg_lo:[1,0,0] neg_hi:[1,0,0]
	v_mov_b32_e32 v26, v43
	s_mov_b32 s1, s4
	v_pk_add_f32 v[12:13], v[8:9], v[32:33]
	v_sub_f32_e32 v21, v32, v22
	v_pk_add_f32 v[0:1], v[22:23], v[0:1] neg_lo:[0,1] neg_hi:[0,1]
	v_pk_fma_f32 v[10:11], v[6:7], s[2:3], v[10:11] op_sel_hi:[1,0,1]
	v_pk_fma_f32 v[6:7], v[6:7], s[2:3], v[48:49] op_sel_hi:[1,0,1]
	v_pk_mul_f32 v[48:49], v[26:27], s[0:1]
	v_sub_f32_e32 v13, v16, v20
	v_add_f32_e32 v0, v0, v1
	v_mov_b32_e32 v23, v21
	v_sub_f32_e32 v1, v39, v48
	v_mul_f32_e32 v44, 0x3f737871, v27
	v_mul_f32_e32 v34, 0x3e9e377a, v0
	v_add_f32_e32 v0, v31, v24
	v_pk_add_f32 v[12:13], v[12:13], v[22:23]
	v_mov_b32_e32 v21, 0x3e9e377a
	v_sub_f32_e32 v51, v1, v49
	v_add_f32_e32 v1, v48, v39
	v_mov_b32_e32 v45, 0x3f167918
	v_pk_mul_f32 v[52:53], v[42:43], s[0:1]
	v_add_f32_e32 v0, v30, v0
	v_pk_add_f32 v[46:47], v[12:13], v[20:21]
	v_pk_mul_f32 v[12:13], v[12:13], v[20:21]
	v_add_f32_e32 v1, v49, v1
	v_pk_add_f32 v[48:49], v[42:43], v[44:45]
	v_fmamk_f32 v27, v27, 0xbf737871, v42
	v_mov_b32_e32 v26, v53
	s_movk_i32 s0, 0x45
	v_add_f32_e32 v0, v28, v0
	v_mov_b32_e32 v47, v13
	v_pk_add_f32 v[48:49], v[48:49], v[26:27] neg_lo:[0,1] neg_hi:[0,1]
	v_pk_fma_f32 v[26:27], v[42:43], v[44:45], v[26:27]
	v_mov_b32_e32 v50, v16
	v_cmp_lt_u32_e64 s[2:3], s0, v36
	s_movk_i32 s0, 0x46
	v_add_f32_e32 v0, v29, v0
	v_mad_u32_u24 v40, v36, 20, 0
	v_mov_b32_e32 v49, v27
	v_pk_add_f32 v[42:43], v[46:47], v[50:51]
	v_cmp_gt_u32_e64 s[0:1], s0, v36
	v_pk_add_f32 v[26:27], v[34:35], v[48:49] op_sel_hi:[0,1]
	v_add_f32_e32 v1, v13, v1
	ds_write2_b32 v40, v42, v43 offset1:1
	ds_write2_b32 v40, v26, v27 offset0:2 offset1:3
	ds_write_b32 v40, v1 offset:16
	s_and_saveexec_b64 s[4:5], s[0:1]
	s_cbranch_execz .LBB0_17
; %bb.16:
	v_add_u32_e32 v1, 0xdb0, v40
	v_add_u32_e32 v12, 0xdb8, v40
	ds_write_b32 v40, v0 offset:3500
	ds_write2_b32 v1, v10, v11 offset1:1
	v_mov_b32_e32 v8, v7
	v_mov_b32_e32 v1, v6
	ds_write2_b32 v12, v7, v6 offset1:1
.LBB0_17:
	s_or_b64 exec, exec, s[4:5]
	v_lshlrev_b32_e32 v1, 4, v36
	v_sub_u32_e32 v8, v40, v1
	v_add_u32_e32 v21, 0x780, v8
	s_waitcnt lgkmcnt(0)
	s_barrier
	ds_read2_b32 v[12:13], v8 offset1:245
	ds_read2_b32 v[26:27], v21 offset0:10 offset1:255
	ds_read_b32 v39, v8 offset:3920
	v_sub_u32_e32 v1, 0, v1
	v_add_u32_e32 v23, v40, v1
	s_and_saveexec_b64 s[4:5], s[0:1]
	s_cbranch_execz .LBB0_19
; %bb.18:
	v_add_u32_e32 v0, 0x2a0, v23
	v_add_u32_e32 v1, 0xa40, v23
	ds_read2_b32 v[42:43], v1 offset0:9 offset1:254
	ds_read2_b32 v[0:1], v0 offset0:7 offset1:252
	ds_read_b32 v6, v23 offset:4620
	s_waitcnt lgkmcnt(2)
	v_mov_b32_e32 v7, v43
	s_waitcnt lgkmcnt(1)
	v_mov_b32_e32 v10, v1
	v_mov_b32_e32 v11, v42
.LBB0_19:
	s_or_b64 exec, exec, s[4:5]
	v_add_f32_e32 v1, v35, v37
	v_mov_b32_e32 v46, v9
	v_mov_b32_e32 v47, v17
	;; [unrolled: 1-line block ×3, first 2 shown]
	v_mul_f32_e32 v21, 0.5, v1
	v_sub_f32_e32 v1, v22, v20
	v_mov_b32_e32 v20, v9
	v_pk_add_f32 v[48:49], v[46:47], v[34:35] neg_lo:[0,1] neg_hi:[0,1]
	v_add_f32_e32 v9, v9, v17
	v_add_f32_e32 v8, v48, v49
	v_mov_b32_e32 v48, v17
	v_mul_f32_e32 v17, 0.5, v9
	v_pk_add_f32 v[44:45], v[32:33], v[20:21] op_sel:[1,0]
	v_pk_add_f32 v[20:21], v[32:33], v[20:21] op_sel:[1,0] neg_lo:[0,1] neg_hi:[0,1]
	v_pk_add_f32 v[16:17], v[32:33], v[16:17] neg_lo:[0,1] neg_hi:[0,1]
	v_mov_b32_e32 v45, v21
	v_mul_f32_e32 v33, 0x3f737871, v16
	v_mov_b32_e32 v32, v37
	v_fmac_f32_e32 v21, 0xbf737871, v16
	s_mov_b32 s4, 0x3f167918
	v_mul_f32_e32 v43, 0x3f167918, v1
	v_mov_b32_e32 v42, v35
	v_pk_add_f32 v[32:33], v[44:45], v[32:33]
	v_fmamk_f32 v22, v1, 0xbf167918, v21
	v_mul_f32_e32 v49, 0x3e9e377a, v8
	v_mul_f32_e32 v9, 0x3f737871, v1
	v_pk_add_f32 v[34:35], v[34:35], v[46:47] neg_lo:[0,1] neg_hi:[0,1]
	v_pk_add_f32 v[32:33], v[32:33], v[42:43]
	v_fmac_f32_e32 v22, 0x3e9e377a, v8
	v_mov_b32_e32 v8, 0x3f167918
	v_pk_mul_f32 v[42:43], v[16:17], s[4:5]
	v_add_f32_e32 v20, v34, v35
	v_fmamk_f32 v34, v1, 0xbf737871, v17
	v_pk_add_f32 v[44:45], v[16:17], v[8:9]
	v_mov_b32_e32 v35, v42
	v_pk_fma_f32 v[8:9], v[16:17], v[8:9], v[34:35]
	v_pk_add_f32 v[16:17], v[44:45], v[34:35] neg_lo:[0,1] neg_hi:[0,1]
	v_mul_f32_e32 v20, 0x3e9e377a, v20
	v_mov_b32_e32 v9, v17
	v_pk_add_f32 v[16:17], v[14:15], v[18:19]
	s_mov_b32 s14, 0x3f737871
	v_pk_add_f32 v[20:21], v[20:21], v[8:9] op_sel_hi:[0,1]
	v_pk_add_f32 v[8:9], v[18:19], v[24:25]
	v_mov_b32_e32 v1, v18
	v_pk_add_f32 v[28:29], v[30:31], v[28:29] neg_lo:[0,1] neg_hi:[0,1]
	v_pk_add_f32 v[18:19], v[18:19], v[18:19] op_sel:[0,1] op_sel_hi:[1,0] neg_lo:[0,1] neg_hi:[0,1]
	v_pk_add_f32 v[30:31], v[14:15], v[14:15] op_sel:[0,1] op_sel_hi:[1,0] neg_lo:[0,1] neg_hi:[0,1]
	v_pk_fma_f32 v[16:17], -0.5, v[16:17], v[24:25] op_sel:[0,0,1] op_sel_hi:[0,1,1]
	s_mov_b32 s12, 0x3e9e377a
	v_pk_add_f32 v[8:9], v[0:1], v[8:9]
	v_pk_fma_f32 v[24:25], v[28:29], s[14:15], v[16:17] op_sel:[0,0,1] op_sel_hi:[1,0,0]
	v_pk_mul_f32 v[34:35], v[28:29], s[4:5] op_sel_hi:[1,0]
	v_pk_add_f32 v[30:31], v[30:31], v[18:19]
	v_pk_fma_f32 v[16:17], v[28:29], s[14:15], v[16:17] op_sel:[0,0,1] op_sel_hi:[1,0,0] neg_lo:[1,0,0] neg_hi:[1,0,0]
	v_pk_mul_f32 v[18:19], v[30:31], s[12:13] op_sel_hi:[1,0]
	v_add_f32_e32 v1, v34, v25
	v_mov_b32_e32 v25, v17
	v_mov_b32_e32 v28, v35
	;; [unrolled: 1-line block ×4, first 2 shown]
	v_pk_add_f32 v[24:25], v[24:25], v[34:35] op_sel:[0,1] op_sel_hi:[1,0] neg_lo:[0,1] neg_hi:[0,1]
	v_pk_add_f32 v[8:9], v[28:29], v[16:17]
	v_mov_b32_e32 v14, v18
	v_pk_add_f32 v[32:33], v[32:33], v[48:49]
	v_pk_add_f32 v[8:9], v[14:15], v[8:9]
	v_pk_fma_f32 v[16:17], v[30:31], s[12:13], v[24:25] op_sel_hi:[1,0,1]
	s_waitcnt lgkmcnt(0)
	s_barrier
	ds_write2_b32 v40, v32, v33 offset1:1
	ds_write2_b32 v40, v20, v21 offset0:2 offset1:3
	ds_write_b32 v40, v22 offset:16
	s_and_saveexec_b64 s[4:5], s[2:3]
	s_xor_b64 s[2:3], exec, s[4:5]
; %bb.20:
                                        ; implicit-def: $vgpr40
; %bb.21:
	s_or_saveexec_b64 s[2:3], s[2:3]
	v_add_f32_e32 v19, v19, v1
	s_xor_b64 exec, exec, s[2:3]
	s_cbranch_execz .LBB0_23
; %bb.22:
	v_add_u32_e32 v1, 0xdac, v40
	v_add_u32_e32 v15, 0xdb4, v40
	ds_write2_b32 v1, v9, v19 offset1:1
	v_mov_b32_e32 v1, v16
	ds_write2_b32 v15, v8, v16 offset1:1
	ds_write_b32 v40, v17 offset:3516
.LBB0_23:
	s_or_b64 exec, exec, s[2:3]
	v_add_u32_e32 v1, 0x780, v23
	s_waitcnt lgkmcnt(0)
	s_barrier
	ds_read2_b32 v[14:15], v23 offset1:245
	ds_read2_b32 v[20:21], v1 offset0:10 offset1:255
	ds_read_b32 v1, v23 offset:3920
	s_and_saveexec_b64 s[2:3], s[0:1]
	s_cbranch_execz .LBB0_25
; %bb.24:
	v_add_u32_e32 v8, 0xa40, v23
	v_add_u32_e32 v16, 0x2a0, v23
	ds_read2_b32 v[8:9], v8 offset0:9 offset1:254
	ds_read2_b32 v[18:19], v16 offset0:7 offset1:252
	ds_read_b32 v17, v23 offset:4620
	s_waitcnt lgkmcnt(2)
	v_mov_b32_e32 v16, v9
	s_waitcnt lgkmcnt(1)
	v_mov_b32_e32 v9, v18
.LBB0_25:
	s_or_b64 exec, exec, s[2:3]
	s_movk_i32 s4, 0xcd
	v_mul_lo_u16_sdwa v18, v36, s4 dst_sel:DWORD dst_unused:UNUSED_PAD src0_sel:BYTE_0 src1_sel:DWORD
	v_lshrrev_b16_e32 v22, 10, v18
	v_mul_lo_u16_e32 v18, 5, v22
	v_sub_u16_e32 v24, v36, v18
	v_mov_b32_e32 v18, 5
	v_lshlrev_b32_sdwa v18, v18, v24 dst_sel:DWORD dst_unused:UNUSED_PAD src0_sel:DWORD src1_sel:BYTE_0
	global_load_dwordx4 v[40:43], v18, s[8:9] offset:16
	global_load_dwordx4 v[44:47], v18, s[8:9]
	v_add_u32_e32 v18, 0xaf, v36
	s_mov_b32 s2, 0xcccd
	v_mul_u32_u24_sdwa v25, v18, s2 dst_sel:DWORD dst_unused:UNUSED_PAD src0_sel:WORD_0 src1_sel:DWORD
	v_lshrrev_b32_e32 v25, 18, v25
	v_mul_lo_u16_e32 v25, 5, v25
	v_sub_u16_e32 v34, v18, v25
	v_lshlrev_b32_e32 v25, 5, v34
	global_load_dwordx4 v[48:51], v25, s[8:9]
	global_load_dwordx4 v[52:55], v25, s[8:9] offset:16
	v_mov_b32_e32 v25, 2
	v_mul_u32_u24_e32 v22, 0x64, v22
	v_lshlrev_b32_sdwa v24, v25, v24 dst_sel:DWORD dst_unused:UNUSED_PAD src0_sel:DWORD src1_sel:BYTE_0
	v_add3_u32 v28, 0, v22, v24
	s_waitcnt lgkmcnt(0)
	s_barrier
	s_waitcnt vmcnt(3)
	v_mul_f32_e32 v32, v21, v41
	s_waitcnt vmcnt(2)
	v_mul_f32_e32 v31, v20, v47
	v_mul_f32_e32 v30, v15, v45
	;; [unrolled: 1-line block ×5, first 2 shown]
	v_fmac_f32_e32 v31, v26, v46
	v_fmac_f32_e32 v32, v27, v40
	v_mul_f32_e32 v37, v26, v47
	s_waitcnt vmcnt(0)
	v_mul_f32_e32 v25, v16, v53
	v_mul_f32_e32 v41, v27, v41
	;; [unrolled: 1-line block ×7, first 2 shown]
	v_fmac_f32_e32 v30, v13, v44
	v_fma_f32 v13, v15, v44, -v35
	v_fmac_f32_e32 v33, v39, v42
	v_fma_f32 v1, v1, v42, -v43
	v_fmac_f32_e32 v25, v7, v52
	v_add_f32_e32 v7, v31, v32
	v_mul_f32_e32 v24, v8, v51
	v_mul_f32_e32 v51, v6, v55
	v_fma_f32 v26, v20, v46, -v37
	v_fma_f32 v27, v21, v40, -v41
	;; [unrolled: 1-line block ×4, first 2 shown]
	v_fmac_f32_e32 v29, v6, v54
	v_add_f32_e32 v6, v12, v30
	v_sub_f32_e32 v8, v13, v1
	v_add_f32_e32 v21, v30, v33
	v_fma_f32 v7, -0.5, v7, v12
	v_fmac_f32_e32 v22, v10, v48
	v_fmac_f32_e32 v24, v11, v50
	v_fma_f32 v20, v16, v52, -v49
	v_sub_f32_e32 v10, v26, v27
	v_sub_f32_e32 v11, v30, v31
	;; [unrolled: 1-line block ×5, first 2 shown]
	v_add_f32_e32 v6, v6, v31
	v_fmac_f32_e32 v12, -0.5, v21
	v_fmamk_f32 v21, v8, 0xbf737871, v7
	v_add_f32_e32 v11, v11, v16
	v_add_f32_e32 v16, v35, v37
	v_add_f32_e32 v6, v6, v32
	v_fmac_f32_e32 v7, 0x3f737871, v8
	v_fmamk_f32 v35, v10, 0x3f737871, v12
	v_fmac_f32_e32 v12, 0xbf737871, v10
	v_fmac_f32_e32 v21, 0xbf167918, v10
	v_add_f32_e32 v6, v6, v33
	v_fmac_f32_e32 v7, 0x3f167918, v10
	v_fmac_f32_e32 v35, 0xbf167918, v8
	;; [unrolled: 1-line block ×4, first 2 shown]
	v_fma_f32 v17, v17, v54, -v51
	v_fmac_f32_e32 v7, 0x3e9e377a, v11
	v_fmac_f32_e32 v35, 0x3e9e377a, v16
	;; [unrolled: 1-line block ×3, first 2 shown]
	ds_write2_b32 v28, v6, v21 offset1:5
	ds_write2_b32 v28, v35, v12 offset0:10 offset1:15
	ds_write_b32 v28, v7 offset:80
	v_lshlrev_b32_e32 v21, 2, v34
	s_and_saveexec_b64 s[2:3], s[0:1]
	s_cbranch_execz .LBB0_27
; %bb.26:
	v_add_f32_e32 v8, v22, v29
	v_sub_f32_e32 v6, v24, v22
	v_sub_f32_e32 v7, v25, v29
	v_fma_f32 v8, -0.5, v8, v0
	v_sub_f32_e32 v10, v19, v20
	v_add_f32_e32 v6, v6, v7
	v_sub_f32_e32 v7, v15, v17
	v_fmamk_f32 v11, v10, 0xbf737871, v8
	v_fmac_f32_e32 v8, 0x3f737871, v10
	v_fmac_f32_e32 v11, 0x3f167918, v7
	;; [unrolled: 1-line block ×5, first 2 shown]
	v_sub_f32_e32 v6, v22, v24
	v_sub_f32_e32 v12, v29, v25
	v_add_f32_e32 v6, v6, v12
	v_add_f32_e32 v12, v24, v25
	v_fma_f32 v12, -0.5, v12, v0
	v_fmamk_f32 v16, v7, 0x3f737871, v12
	v_fmac_f32_e32 v12, 0xbf737871, v7
	v_fmac_f32_e32 v16, 0x3f167918, v10
	;; [unrolled: 1-line block ×5, first 2 shown]
	v_add_f32_e32 v0, v0, v22
	v_mul_lo_u16_sdwa v6, v18, s4 dst_sel:DWORD dst_unused:UNUSED_PAD src0_sel:BYTE_0 src1_sel:DWORD
	v_add_f32_e32 v0, v0, v24
	v_lshrrev_b16_e32 v6, 10, v6
	v_add_f32_e32 v0, v0, v25
	v_mul_u32_u24_e32 v6, 0x64, v6
	v_add_f32_e32 v0, v0, v29
	v_add3_u32 v6, 0, v6, v21
	ds_write2_b32 v6, v0, v12 offset1:5
	ds_write2_b32 v6, v8, v11 offset0:10 offset1:15
	ds_write_b32 v6, v16 offset:80
.LBB0_27:
	s_or_b64 exec, exec, s[2:3]
	v_add_f32_e32 v0, v14, v13
	v_add_f32_e32 v0, v0, v26
	;; [unrolled: 1-line block ×5, first 2 shown]
	v_fma_f32 v35, -0.5, v0, v14
	v_sub_f32_e32 v0, v30, v33
	v_fmamk_f32 v30, v0, 0x3f737871, v35
	v_sub_f32_e32 v6, v31, v32
	v_sub_f32_e32 v7, v13, v26
	;; [unrolled: 1-line block ×3, first 2 shown]
	v_fmac_f32_e32 v35, 0xbf737871, v0
	v_fmac_f32_e32 v30, 0x3f167918, v6
	v_add_f32_e32 v7, v7, v8
	v_fmac_f32_e32 v35, 0xbf167918, v6
	v_fmac_f32_e32 v30, 0x3e9e377a, v7
	;; [unrolled: 1-line block ×3, first 2 shown]
	v_add_f32_e32 v7, v13, v1
	v_fmac_f32_e32 v14, -0.5, v7
	v_fmamk_f32 v31, v6, 0xbf737871, v14
	v_sub_f32_e32 v7, v26, v13
	v_sub_f32_e32 v1, v27, v1
	v_fmac_f32_e32 v14, 0x3f737871, v6
	v_fmac_f32_e32 v31, 0x3f167918, v0
	v_add_f32_e32 v1, v7, v1
	v_fmac_f32_e32 v14, 0xbf167918, v0
	s_waitcnt lgkmcnt(0)
	s_barrier
	v_lshl_add_u32 v8, v36, 2, 0
	ds_read_b32 v13, v23 offset:4200
	ds_read_b32 v11, v23
	ds_read_b32 v16, v8 offset:700
	v_add_u32_e32 v10, 0x500, v23
	v_add_u32_e32 v12, 0xa00, v23
	v_fmac_f32_e32 v31, 0x3e9e377a, v1
	v_fmac_f32_e32 v14, 0x3e9e377a, v1
	ds_read2_b32 v[6:7], v10 offset0:30 offset1:205
	ds_read2_b32 v[0:1], v12 offset0:60 offset1:235
	s_waitcnt lgkmcnt(0)
	s_barrier
	ds_write2_b32 v28, v34, v30 offset1:5
	ds_write2_b32 v28, v31, v14 offset0:10 offset1:15
	ds_write_b32 v28, v35 offset:80
	s_and_saveexec_b64 s[2:3], s[0:1]
	s_cbranch_execz .LBB0_29
; %bb.28:
	v_add_f32_e32 v26, v19, v20
	v_fma_f32 v26, -0.5, v26, v9
	v_sub_f32_e32 v22, v22, v29
	v_fmamk_f32 v27, v22, 0x3f737871, v26
	v_sub_f32_e32 v24, v24, v25
	v_sub_f32_e32 v25, v15, v19
	;; [unrolled: 1-line block ×3, first 2 shown]
	v_fmac_f32_e32 v26, 0xbf737871, v22
	v_add_f32_e32 v14, v9, v15
	v_fmac_f32_e32 v27, 0x3f167918, v24
	v_add_f32_e32 v25, v25, v28
	;; [unrolled: 2-line block ×3, first 2 shown]
	v_fmac_f32_e32 v27, 0x3e9e377a, v25
	v_fmac_f32_e32 v26, 0x3e9e377a, v25
	v_add_f32_e32 v25, v15, v17
	v_add_f32_e32 v14, v14, v20
	v_fmac_f32_e32 v9, -0.5, v25
	v_add_f32_e32 v14, v14, v17
	v_fmamk_f32 v25, v24, 0xbf737871, v9
	v_sub_f32_e32 v15, v19, v15
	v_sub_f32_e32 v17, v20, v17
	v_fmac_f32_e32 v9, 0x3f737871, v24
	v_fmac_f32_e32 v25, 0x3f167918, v22
	v_add_f32_e32 v15, v15, v17
	v_fmac_f32_e32 v9, 0xbf167918, v22
	s_movk_i32 s0, 0xcd
	v_fmac_f32_e32 v25, 0x3e9e377a, v15
	v_fmac_f32_e32 v9, 0x3e9e377a, v15
	v_mul_lo_u16_sdwa v15, v18, s0 dst_sel:DWORD dst_unused:UNUSED_PAD src0_sel:BYTE_0 src1_sel:DWORD
	v_lshrrev_b16_e32 v15, 10, v15
	v_mul_u32_u24_e32 v15, 0x64, v15
	v_add3_u32 v15, 0, v15, v21
	ds_write2_b32 v15, v14, v27 offset1:5
	ds_write2_b32 v15, v25, v9 offset0:10 offset1:15
	ds_write_b32 v15, v26 offset:80
.LBB0_29:
	s_or_b64 exec, exec, s[2:3]
	v_mov_b32_e32 v9, 41
	v_mul_lo_u16_sdwa v9, v36, v9 dst_sel:DWORD dst_unused:UNUSED_PAD src0_sel:BYTE_0 src1_sel:DWORD
	v_lshrrev_b16_e32 v9, 10, v9
	v_mul_lo_u16_e32 v14, 25, v9
	v_sub_u16_e32 v17, v36, v14
	v_mov_b32_e32 v14, 6
	v_mul_u32_u24_sdwa v14, v17, v14 dst_sel:DWORD dst_unused:UNUSED_PAD src0_sel:BYTE_0 src1_sel:DWORD
	v_lshlrev_b32_e32 v14, 3, v14
	s_waitcnt lgkmcnt(0)
	s_barrier
	global_load_dwordx4 v[18:21], v14, s[8:9] offset:160
	global_load_dwordx4 v[24:27], v14, s[8:9] offset:176
	;; [unrolled: 1-line block ×3, first 2 shown]
	ds_read_b32 v22, v8 offset:700
	ds_read2_b32 v[14:15], v10 offset0:30 offset1:205
	ds_read2_b32 v[32:33], v12 offset0:60 offset1:235
	ds_read_b32 v34, v23
	ds_read_b32 v35, v23 offset:4200
	s_mov_b32 s2, 0x3f3bfb3b
	s_mov_b32 s1, 0xbf3bfb3b
	;; [unrolled: 1-line block ×3, first 2 shown]
	s_waitcnt lgkmcnt(0)
	s_barrier
	s_mov_b32 s14, 0x3f4a47b2
	s_mov_b32 s4, 0xbeae86e6
	;; [unrolled: 1-line block ×6, first 2 shown]
	s_waitcnt vmcnt(2)
	v_mul_f32_e32 v37, v22, v19
	v_mul_f32_e32 v19, v16, v19
	v_mul_f32_e32 v39, v14, v21
	v_mul_f32_e32 v21, v6, v21
	s_waitcnt vmcnt(1)
	v_mul_f32_e32 v40, v15, v25
	v_mul_f32_e32 v25, v7, v25
	v_mul_f32_e32 v41, v32, v27
	v_mul_f32_e32 v27, v0, v27
	;; [unrolled: 5-line block ×3, first 2 shown]
	v_fmac_f32_e32 v37, v16, v18
	v_fma_f32 v16, v22, v18, -v19
	v_fmac_f32_e32 v39, v6, v20
	v_fma_f32 v6, v14, v20, -v21
	;; [unrolled: 2-line block ×6, first 2 shown]
	v_add_f32_e32 v14, v37, v43
	v_add_f32_e32 v15, v16, v13
	v_sub_f32_e32 v13, v16, v13
	v_add_f32_e32 v16, v39, v42
	v_add_f32_e32 v19, v6, v1
	v_sub_f32_e32 v1, v6, v1
	;; [unrolled: 3-line block ×3, first 2 shown]
	v_sub_f32_e32 v20, v39, v42
	v_sub_f32_e32 v22, v41, v40
	;; [unrolled: 1-line block ×3, first 2 shown]
	v_add_f32_e32 v7, v16, v14
	v_add_f32_e32 v24, v19, v15
	v_sub_f32_e32 v25, v16, v14
	v_sub_f32_e32 v26, v19, v15
	;; [unrolled: 1-line block ×6, first 2 shown]
	v_add_f32_e32 v27, v22, v20
	v_sub_f32_e32 v29, v22, v20
	v_sub_f32_e32 v20, v20, v18
	v_add_f32_e32 v6, v6, v7
	v_add_f32_e32 v7, v21, v24
	v_mul_f32_e32 v14, 0x3f4a47b2, v14
	v_mul_f32_e32 v15, 0x3f4a47b2, v15
	;; [unrolled: 1-line block ×3, first 2 shown]
	v_sub_f32_e32 v22, v18, v22
	v_add_f32_e32 v18, v27, v18
	v_mul_f32_e32 v24, 0x3d64c772, v19
	v_mul_f32_e32 v27, 0x3f08b237, v29
	;; [unrolled: 1-line block ×3, first 2 shown]
	v_add_f32_e32 v31, v34, v7
	v_fma_f32 v21, v25, s2, -v21
	v_fma_f32 v25, v25, s1, -v14
	v_fmac_f32_e32 v14, 0x3d64c772, v16
	v_fma_f32 v16, v26, s1, -v15
	s_mov_b32 s1, 0x3eae86e6
	v_add_f32_e32 v28, v0, v1
	v_sub_f32_e32 v30, v0, v1
	v_sub_f32_e32 v1, v1, v13
	v_fmamk_f32 v7, v7, 0xbf955555, v31
	v_fma_f32 v24, v26, s2, -v24
	v_fmac_f32_e32 v15, 0x3d64c772, v19
	v_fma_f32 v19, v20, s0, -v27
	v_fma_f32 v20, v22, s1, -v29
	v_sub_f32_e32 v0, v13, v0
	v_add_f32_e32 v13, v28, v13
	v_mul_f32_e32 v28, 0x3f08b237, v30
	v_mul_f32_e32 v30, 0xbf5ff5aa, v1
	v_add_f32_e32 v11, v11, v6
	v_fmac_f32_e32 v27, 0xbeae86e6, v22
	v_add_f32_e32 v15, v15, v7
	v_add_f32_e32 v22, v24, v7
	;; [unrolled: 1-line block ×3, first 2 shown]
	v_fmac_f32_e32 v20, 0xbee1c552, v18
	v_fmamk_f32 v6, v6, 0xbf955555, v11
	v_fma_f32 v1, v1, s0, -v28
	v_fmac_f32_e32 v28, 0xbeae86e6, v0
	v_fma_f32 v0, v0, s1, -v30
	v_sub_f32_e32 v24, v7, v20
	v_add_f32_e32 v20, v20, v7
	v_mul_u32_u24_e32 v7, 0x2bc, v9
	v_mov_b32_e32 v9, 2
	v_add_f32_e32 v14, v14, v6
	v_add_f32_e32 v21, v21, v6
	;; [unrolled: 1-line block ×3, first 2 shown]
	v_fmac_f32_e32 v27, 0xbee1c552, v18
	v_fmac_f32_e32 v28, 0xbee1c552, v13
	;; [unrolled: 1-line block ×3, first 2 shown]
	v_lshlrev_b32_sdwa v9, v9, v17 dst_sel:DWORD dst_unused:UNUSED_PAD src0_sel:DWORD src1_sel:BYTE_0
	v_fmac_f32_e32 v19, 0xbee1c552, v18
	v_fmac_f32_e32 v1, 0xbee1c552, v13
	v_add_f32_e32 v13, v28, v14
	v_sub_f32_e32 v16, v15, v27
	v_add_f32_e32 v18, v0, v6
	v_sub_f32_e32 v0, v6, v0
	v_sub_f32_e32 v6, v14, v28
	v_add_f32_e32 v14, v27, v15
	v_add3_u32 v15, 0, v7, v9
	v_sub_f32_e32 v25, v21, v1
	v_add_f32_e32 v1, v1, v21
	ds_write2_b32 v15, v11, v13 offset1:25
	ds_write2_b32 v15, v18, v25 offset0:50 offset1:75
	ds_write2_b32 v15, v1, v0 offset0:100 offset1:125
	ds_write_b32 v15, v6 offset:600
	s_waitcnt lgkmcnt(0)
	s_barrier
	ds_read_b32 v9, v23 offset:4200
	ds_read_b32 v0, v23
	ds_read_b32 v13, v8 offset:700
	ds_read2_b32 v[10:11], v10 offset0:30 offset1:205
	ds_read2_b32 v[6:7], v12 offset0:60 offset1:235
	v_add_f32_e32 v26, v19, v22
	v_sub_f32_e32 v19, v22, v19
	s_waitcnt lgkmcnt(0)
	s_barrier
	ds_write2_b32 v15, v31, v16 offset1:25
	ds_write2_b32 v15, v24, v26 offset0:50 offset1:75
	ds_write2_b32 v15, v19, v20 offset0:100 offset1:125
	ds_write_b32 v15, v14 offset:600
	s_waitcnt lgkmcnt(0)
	s_barrier
	s_and_saveexec_b64 s[20:21], vcc
	s_cbranch_execz .LBB0_31
; %bb.30:
	v_mul_u32_u24_e32 v1, 6, v36
	v_lshlrev_b32_e32 v1, 3, v1
	global_load_dwordx4 v[14:17], v1, s[8:9] offset:1360
	global_load_dwordx4 v[18:21], v1, s[8:9] offset:1392
	;; [unrolled: 1-line block ×3, first 2 shown]
	ds_read_b32 v56, v8 offset:700
	v_add_u32_e32 v8, 0xa00, v23
	v_add_u32_e32 v32, 0x500, v23
	ds_read_b32 v29, v23 offset:4200
	ds_read_b32 v1, v23
	v_mad_u64_u32 v[22:23], s[8:9], s16, v38, 0
	ds_read2_b32 v[30:31], v8 offset0:60 offset1:235
	ds_read2_b32 v[32:33], v32 offset0:30 offset1:205
	v_mul_lo_u32 v12, s11, v4
	v_mul_lo_u32 v28, s10, v5
	v_mad_u64_u32 v[4:5], s[8:9], s10, v4, 0
	v_add_u32_e32 v48, 0xaf, v38
	v_add_u32_e32 v50, 0x15e, v38
	;; [unrolled: 1-line block ×4, first 2 shown]
	v_mov_b32_e32 v8, v23
	v_add_u32_e32 v55, 0x36b, v38
	v_add_u32_e32 v57, 0x41a, v38
	v_add3_u32 v5, v5, v28, v12
	v_mad_u64_u32 v[34:35], s[8:9], s16, v48, 0
	v_mad_u64_u32 v[36:37], s[8:9], s16, v50, 0
	;; [unrolled: 1-line block ×7, first 2 shown]
	v_lshl_add_u64 v[4:5], v[4:5], 3, s[6:7]
	v_mov_b32_e32 v8, v35
	v_mov_b32_e32 v12, v37
	;; [unrolled: 1-line block ×5, first 2 shown]
	v_lshl_add_u64 v[2:3], v[2:3], 3, v[4:5]
	v_mov_b32_e32 v4, v45
	v_mad_u64_u32 v[48:49], s[6:7], s17, v48, v[8:9]
	v_mad_u64_u32 v[50:51], s[6:7], s17, v50, v[12:13]
	v_mov_b32_e32 v8, v47
	s_waitcnt lgkmcnt(3)
	v_mad_u64_u32 v[52:53], s[6:7], s17, v52, v[28:29]
	v_mad_u64_u32 v[38:39], s[6:7], s17, v54, v[38:39]
	;; [unrolled: 1-line block ×4, first 2 shown]
	v_mov_b32_e32 v35, v48
	v_mov_b32_e32 v37, v50
	;; [unrolled: 1-line block ×8, first 2 shown]
	v_lshl_add_u64 v[38:39], v[42:43], 3, v[2:3]
	s_waitcnt lgkmcnt(1)
	v_mov_b32_e32 v8, v31
	v_mov_b32_e32 v42, v31
	s_waitcnt lgkmcnt(0)
	v_mov_b32_e32 v43, v33
	v_lshl_add_u64 v[22:23], v[22:23], 3, v[2:3]
	v_lshl_add_u64 v[4:5], v[34:35], 3, v[2:3]
	v_lshl_add_u64 v[34:35], v[36:37], 3, v[2:3]
	v_lshl_add_u64 v[36:37], v[40:41], 3, v[2:3]
	v_lshl_add_u64 v[40:41], v[44:45], 3, v[2:3]
	v_lshl_add_u64 v[2:3], v[46:47], 3, v[2:3]
	v_mov_b32_e32 v54, v10
	v_mov_b32_e32 v55, v6
	s_mov_b32 s6, s15
	s_mov_b32 s7, s14
	s_waitcnt vmcnt(2)
	v_mul_f32_e32 v28, v10, v17
	s_waitcnt vmcnt(1)
	v_mul_f32_e32 v12, v7, v19
	v_fma_f32 v48, v32, v16, -v28
	v_mov_b32_e32 v28, v19
	v_mov_b32_e32 v50, v19
	s_waitcnt vmcnt(0)
	v_mov_b32_e32 v19, v25
	v_fma_f32 v12, v31, v18, -v12
	v_mov_b32_e32 v51, v24
	v_pk_mul_f32 v[18:19], v[52:53], v[18:19]
	v_mul_f32_e32 v47, v9, v20
	v_pk_fma_f32 v[52:53], v[8:9], v[28:29], v[18:19]
	v_pk_fma_f32 v[18:19], v[42:43], v[50:51], v[18:19] neg_lo:[0,0,1] neg_hi:[0,0,1]
	v_mov_b32_e32 v8, v17
	v_mov_b32_e32 v51, v20
	;; [unrolled: 1-line block ×4, first 2 shown]
	v_fmac_f32_e32 v47, v29, v21
	v_mov_b32_e32 v42, v32
	v_mov_b32_e32 v43, v30
	;; [unrolled: 1-line block ×5, first 2 shown]
	v_pk_mul_f32 v[16:17], v[54:55], v[16:17]
	v_mov_b32_e32 v28, v33
	v_pk_fma_f32 v[20:21], v[42:43], v[20:21], v[16:17] neg_lo:[0,0,1] neg_hi:[0,0,1]
	v_pk_fma_f32 v[16:17], v[32:33], v[8:9], v[16:17]
	v_mov_b32_e32 v8, v11
	v_pk_mul_f32 v[8:9], v[8:9], v[24:25]
	v_mov_b32_e32 v7, v13
	v_pk_fma_f32 v[24:25], v[28:29], v[50:51], v[8:9]
	v_pk_fma_f32 v[8:9], v[28:29], v[50:51], v[8:9] neg_lo:[0,0,1] neg_hi:[0,0,1]
	v_mul_f32_e32 v45, v13, v14
	v_mov_b32_e32 v8, v27
	v_mov_b32_e32 v27, v15
	;; [unrolled: 1-line block ×5, first 2 shown]
	v_pk_mul_f32 v[6:7], v[6:7], v[26:27]
	v_fmac_f32_e32 v45, v56, v15
	v_pk_fma_f32 v[14:15], v[30:31], v[8:9], v[6:7]
	v_pk_fma_f32 v[6:7], v[30:31], v[8:9], v[6:7] neg_lo:[0,0,1] neg_hi:[0,0,1]
	v_mov_b32_e32 v53, v19
	v_mov_b32_e32 v17, v21
	;; [unrolled: 1-line block ×3, first 2 shown]
	v_pk_add_f32 v[6:7], v[14:15], v[24:25]
	v_pk_add_f32 v[8:9], v[16:17], v[52:53]
	v_add_f32_e32 v43, v48, v12
	v_add_f32_e32 v10, v45, v47
	v_mov_b32_e32 v11, v9
	v_mov_b32_e32 v42, v6
	v_pk_add_f32 v[32:33], v[16:17], v[52:53] neg_lo:[0,1] neg_hi:[0,1]
	v_pk_add_f32 v[16:17], v[10:11], v[42:43] neg_lo:[0,1] neg_hi:[0,1]
	v_mov_b32_e32 v11, v7
	v_mov_b32_e32 v42, v8
	v_pk_add_f32 v[26:27], v[6:7], v[8:9] neg_lo:[0,1] neg_hi:[0,1]
	v_pk_add_f32 v[30:31], v[10:11], v[42:43]
	v_mov_b32_e32 v7, v9
	v_pk_add_f32 v[6:7], v[6:7], v[30:31]
	v_pk_mul_f32 v[16:17], v[16:17], s[14:15]
	v_pk_add_f32 v[0:1], v[0:1], v[6:7]
	v_pk_mul_f32 v[28:29], v[26:27], s[6:7]
	v_pk_fma_f32 v[26:27], v[26:27], s[6:7], v[16:17]
	v_pk_fma_f32 v[6:7], v[6:7], s[12:13], v[0:1] op_sel_hi:[1,0,1]
	v_mov_b32_e32 v44, v21
	v_mov_b32_e32 v46, v19
	;; [unrolled: 1-line block ×4, first 2 shown]
	v_pk_add_f32 v[8:9], v[26:27], v[6:7]
	v_pk_add_f32 v[26:27], v[14:15], v[24:25] neg_lo:[0,1] neg_hi:[0,1]
	v_pk_add_f32 v[18:19], v[44:45], v[46:47] neg_lo:[0,1] neg_hi:[0,1]
	;; [unrolled: 1-line block ×3, first 2 shown]
	v_mov_b32_e32 v14, v27
	v_mov_b32_e32 v15, v13
	;; [unrolled: 1-line block ×4, first 2 shown]
	v_pk_add_f32 v[14:15], v[14:15], v[20:21] neg_lo:[0,1] neg_hi:[0,1]
	v_pk_add_f32 v[20:21], v[18:19], v[12:13] neg_lo:[0,1] neg_hi:[0,1]
	v_mov_b32_e32 v30, v18
	v_mov_b32_e32 v31, v13
	v_mov_b32_e32 v13, v32
	v_pk_mul_f32 v[14:15], v[14:15], s[4:5]
	s_mov_b32 s6, s5
	s_mov_b32 s7, s4
	v_pk_add_f32 v[30:31], v[30:31], v[12:13]
	v_mov_b32_e32 v18, v27
	v_pk_mul_f32 v[24:25], v[20:21], s[6:7]
	v_pk_fma_f32 v[20:21], v[20:21], s[6:7], v[14:15]
	v_pk_add_f32 v[26:27], v[18:19], v[30:31]
	global_store_dwordx2 v[22:23], v[0:1], off
	v_pk_fma_f32 v[20:21], v[26:27], s[18:19], v[20:21] op_sel_hi:[1,0,1]
	s_nop 0
	v_pk_add_f32 v[30:31], v[8:9], v[20:21] neg_lo:[0,1] neg_hi:[0,1]
	v_pk_add_f32 v[8:9], v[8:9], v[20:21]
	v_mov_b32_e32 v1, v31
	v_mov_b32_e32 v0, v8
	global_store_dwordx2 v[4:5], v[0:1], off
	v_mov_b32_e32 v0, v16
	v_mov_b32_e32 v1, v29
	v_pk_add_f32 v[4:5], v[42:43], v[10:11] neg_lo:[0,1] neg_hi:[0,1]
	v_pk_add_f32 v[10:11], v[12:13], v[18:19] neg_lo:[0,1] neg_hi:[0,1]
	v_mov_b32_e32 v12, v14
	v_mov_b32_e32 v13, v25
	;; [unrolled: 1-line block ×4, first 2 shown]
	v_pk_fma_f32 v[0:1], v[4:5], s[2:3], v[0:1] op_sel_hi:[1,0,1] neg_lo:[1,0,1] neg_hi:[1,0,1]
	v_pk_fma_f32 v[12:13], v[10:11], s[0:1], v[12:13] op_sel_hi:[1,0,1] neg_lo:[1,0,1] neg_hi:[1,0,1]
	;; [unrolled: 1-line block ×4, first 2 shown]
	v_pk_add_f32 v[0:1], v[0:1], v[6:7]
	v_pk_fma_f32 v[12:13], v[26:27], s[18:19], v[12:13] op_sel_hi:[1,0,1]
	v_pk_fma_f32 v[10:11], v[26:27], s[18:19], v[10:11] op_sel_hi:[1,0,1]
	v_pk_add_f32 v[4:5], v[4:5], v[6:7]
	v_pk_add_f32 v[18:19], v[0:1], v[12:13] neg_lo:[0,1] neg_hi:[0,1]
	v_pk_add_f32 v[0:1], v[0:1], v[12:13]
	v_pk_add_f32 v[6:7], v[4:5], v[10:11]
	v_pk_add_f32 v[4:5], v[4:5], v[10:11] neg_lo:[0,1] neg_hi:[0,1]
	v_mov_b32_e32 v12, v0
	v_mov_b32_e32 v13, v19
	;; [unrolled: 1-line block ×7, first 2 shown]
	global_store_dwordx2 v[34:35], v[12:13], off
	global_store_dwordx2 v[36:37], v[10:11], off
	;; [unrolled: 1-line block ×5, first 2 shown]
.LBB0_31:
	s_endpgm
	.section	.rodata,"a",@progbits
	.p2align	6, 0x0
	.amdhsa_kernel fft_rtc_back_len1225_factors_5_5_7_7_wgs_175_tpt_175_halfLds_sp_op_CI_CI_sbrr_dirReg
		.amdhsa_group_segment_fixed_size 0
		.amdhsa_private_segment_fixed_size 0
		.amdhsa_kernarg_size 104
		.amdhsa_user_sgpr_count 2
		.amdhsa_user_sgpr_dispatch_ptr 0
		.amdhsa_user_sgpr_queue_ptr 0
		.amdhsa_user_sgpr_kernarg_segment_ptr 1
		.amdhsa_user_sgpr_dispatch_id 0
		.amdhsa_user_sgpr_kernarg_preload_length 0
		.amdhsa_user_sgpr_kernarg_preload_offset 0
		.amdhsa_user_sgpr_private_segment_size 0
		.amdhsa_uses_dynamic_stack 0
		.amdhsa_enable_private_segment 0
		.amdhsa_system_sgpr_workgroup_id_x 1
		.amdhsa_system_sgpr_workgroup_id_y 0
		.amdhsa_system_sgpr_workgroup_id_z 0
		.amdhsa_system_sgpr_workgroup_info 0
		.amdhsa_system_vgpr_workitem_id 0
		.amdhsa_next_free_vgpr 58
		.amdhsa_next_free_sgpr 32
		.amdhsa_accum_offset 60
		.amdhsa_reserve_vcc 1
		.amdhsa_float_round_mode_32 0
		.amdhsa_float_round_mode_16_64 0
		.amdhsa_float_denorm_mode_32 3
		.amdhsa_float_denorm_mode_16_64 3
		.amdhsa_dx10_clamp 1
		.amdhsa_ieee_mode 1
		.amdhsa_fp16_overflow 0
		.amdhsa_tg_split 0
		.amdhsa_exception_fp_ieee_invalid_op 0
		.amdhsa_exception_fp_denorm_src 0
		.amdhsa_exception_fp_ieee_div_zero 0
		.amdhsa_exception_fp_ieee_overflow 0
		.amdhsa_exception_fp_ieee_underflow 0
		.amdhsa_exception_fp_ieee_inexact 0
		.amdhsa_exception_int_div_zero 0
	.end_amdhsa_kernel
	.text
.Lfunc_end0:
	.size	fft_rtc_back_len1225_factors_5_5_7_7_wgs_175_tpt_175_halfLds_sp_op_CI_CI_sbrr_dirReg, .Lfunc_end0-fft_rtc_back_len1225_factors_5_5_7_7_wgs_175_tpt_175_halfLds_sp_op_CI_CI_sbrr_dirReg
                                        ; -- End function
	.section	.AMDGPU.csdata,"",@progbits
; Kernel info:
; codeLenInByte = 6640
; NumSgprs: 38
; NumVgprs: 58
; NumAgprs: 0
; TotalNumVgprs: 58
; ScratchSize: 0
; MemoryBound: 0
; FloatMode: 240
; IeeeMode: 1
; LDSByteSize: 0 bytes/workgroup (compile time only)
; SGPRBlocks: 4
; VGPRBlocks: 7
; NumSGPRsForWavesPerEU: 38
; NumVGPRsForWavesPerEU: 58
; AccumOffset: 60
; Occupancy: 8
; WaveLimiterHint : 1
; COMPUTE_PGM_RSRC2:SCRATCH_EN: 0
; COMPUTE_PGM_RSRC2:USER_SGPR: 2
; COMPUTE_PGM_RSRC2:TRAP_HANDLER: 0
; COMPUTE_PGM_RSRC2:TGID_X_EN: 1
; COMPUTE_PGM_RSRC2:TGID_Y_EN: 0
; COMPUTE_PGM_RSRC2:TGID_Z_EN: 0
; COMPUTE_PGM_RSRC2:TIDIG_COMP_CNT: 0
; COMPUTE_PGM_RSRC3_GFX90A:ACCUM_OFFSET: 14
; COMPUTE_PGM_RSRC3_GFX90A:TG_SPLIT: 0
	.text
	.p2alignl 6, 3212836864
	.fill 256, 4, 3212836864
	.type	__hip_cuid_aa098a36630c6ec2,@object ; @__hip_cuid_aa098a36630c6ec2
	.section	.bss,"aw",@nobits
	.globl	__hip_cuid_aa098a36630c6ec2
__hip_cuid_aa098a36630c6ec2:
	.byte	0                               ; 0x0
	.size	__hip_cuid_aa098a36630c6ec2, 1

	.ident	"AMD clang version 19.0.0git (https://github.com/RadeonOpenCompute/llvm-project roc-6.4.0 25133 c7fe45cf4b819c5991fe208aaa96edf142730f1d)"
	.section	".note.GNU-stack","",@progbits
	.addrsig
	.addrsig_sym __hip_cuid_aa098a36630c6ec2
	.amdgpu_metadata
---
amdhsa.kernels:
  - .agpr_count:     0
    .args:
      - .actual_access:  read_only
        .address_space:  global
        .offset:         0
        .size:           8
        .value_kind:     global_buffer
      - .offset:         8
        .size:           8
        .value_kind:     by_value
      - .actual_access:  read_only
        .address_space:  global
        .offset:         16
        .size:           8
        .value_kind:     global_buffer
      - .actual_access:  read_only
        .address_space:  global
        .offset:         24
        .size:           8
        .value_kind:     global_buffer
      - .actual_access:  read_only
        .address_space:  global
        .offset:         32
        .size:           8
        .value_kind:     global_buffer
      - .offset:         40
        .size:           8
        .value_kind:     by_value
      - .actual_access:  read_only
        .address_space:  global
        .offset:         48
        .size:           8
        .value_kind:     global_buffer
      - .actual_access:  read_only
        .address_space:  global
        .offset:         56
        .size:           8
        .value_kind:     global_buffer
      - .offset:         64
        .size:           4
        .value_kind:     by_value
      - .actual_access:  read_only
        .address_space:  global
        .offset:         72
        .size:           8
        .value_kind:     global_buffer
      - .actual_access:  read_only
        .address_space:  global
        .offset:         80
        .size:           8
        .value_kind:     global_buffer
      - .actual_access:  read_only
        .address_space:  global
        .offset:         88
        .size:           8
        .value_kind:     global_buffer
      - .actual_access:  write_only
        .address_space:  global
        .offset:         96
        .size:           8
        .value_kind:     global_buffer
    .group_segment_fixed_size: 0
    .kernarg_segment_align: 8
    .kernarg_segment_size: 104
    .language:       OpenCL C
    .language_version:
      - 2
      - 0
    .max_flat_workgroup_size: 175
    .name:           fft_rtc_back_len1225_factors_5_5_7_7_wgs_175_tpt_175_halfLds_sp_op_CI_CI_sbrr_dirReg
    .private_segment_fixed_size: 0
    .sgpr_count:     38
    .sgpr_spill_count: 0
    .symbol:         fft_rtc_back_len1225_factors_5_5_7_7_wgs_175_tpt_175_halfLds_sp_op_CI_CI_sbrr_dirReg.kd
    .uniform_work_group_size: 1
    .uses_dynamic_stack: false
    .vgpr_count:     58
    .vgpr_spill_count: 0
    .wavefront_size: 64
amdhsa.target:   amdgcn-amd-amdhsa--gfx950
amdhsa.version:
  - 1
  - 2
...

	.end_amdgpu_metadata
